;; amdgpu-corpus repo=ROCm/rocFFT kind=compiled arch=gfx950 opt=O3
	.text
	.amdgcn_target "amdgcn-amd-amdhsa--gfx950"
	.amdhsa_code_object_version 6
	.protected	fft_rtc_back_len1232_factors_2_2_2_2_11_7_wgs_176_tpt_176_halfLds_half_ip_CI_unitstride_sbrr_dirReg ; -- Begin function fft_rtc_back_len1232_factors_2_2_2_2_11_7_wgs_176_tpt_176_halfLds_half_ip_CI_unitstride_sbrr_dirReg
	.globl	fft_rtc_back_len1232_factors_2_2_2_2_11_7_wgs_176_tpt_176_halfLds_half_ip_CI_unitstride_sbrr_dirReg
	.p2align	8
	.type	fft_rtc_back_len1232_factors_2_2_2_2_11_7_wgs_176_tpt_176_halfLds_half_ip_CI_unitstride_sbrr_dirReg,@function
fft_rtc_back_len1232_factors_2_2_2_2_11_7_wgs_176_tpt_176_halfLds_half_ip_CI_unitstride_sbrr_dirReg: ; @fft_rtc_back_len1232_factors_2_2_2_2_11_7_wgs_176_tpt_176_halfLds_half_ip_CI_unitstride_sbrr_dirReg
; %bb.0:
	s_load_dwordx2 s[8:9], s[0:1], 0x50
	s_load_dwordx4 s[4:7], s[0:1], 0x0
	s_load_dwordx2 s[10:11], s[0:1], 0x18
	v_mul_u32_u24_e32 v1, 0x175, v0
	v_add_u32_sdwa v6, s2, v1 dst_sel:DWORD dst_unused:UNUSED_PAD src0_sel:DWORD src1_sel:WORD_1
	v_mov_b32_e32 v4, 0
	s_waitcnt lgkmcnt(0)
	v_cmp_lt_u64_e64 s[2:3], s[6:7], 2
	v_mov_b32_e32 v7, v4
	s_and_b64 vcc, exec, s[2:3]
	v_mov_b64_e32 v[2:3], 0
	s_cbranch_vccnz .LBB0_8
; %bb.1:
	s_load_dwordx2 s[2:3], s[0:1], 0x10
	s_add_u32 s12, s10, 8
	s_addc_u32 s13, s11, 0
	s_mov_b64 s[14:15], 1
	v_mov_b64_e32 v[2:3], 0
	s_waitcnt lgkmcnt(0)
	s_add_u32 s16, s2, 8
	s_addc_u32 s17, s3, 0
.LBB0_2:                                ; =>This Inner Loop Header: Depth=1
	s_load_dwordx2 s[18:19], s[16:17], 0x0
                                        ; implicit-def: $vgpr8_vgpr9
	s_waitcnt lgkmcnt(0)
	v_or_b32_e32 v5, s19, v7
	v_cmp_ne_u64_e32 vcc, 0, v[4:5]
	s_and_saveexec_b64 s[2:3], vcc
	s_xor_b64 s[20:21], exec, s[2:3]
	s_cbranch_execz .LBB0_4
; %bb.3:                                ;   in Loop: Header=BB0_2 Depth=1
	v_cvt_f32_u32_e32 v1, s18
	v_cvt_f32_u32_e32 v5, s19
	s_sub_u32 s2, 0, s18
	s_subb_u32 s3, 0, s19
	v_fmac_f32_e32 v1, 0x4f800000, v5
	v_rcp_f32_e32 v1, v1
	s_nop 0
	v_mul_f32_e32 v1, 0x5f7ffffc, v1
	v_mul_f32_e32 v5, 0x2f800000, v1
	v_trunc_f32_e32 v5, v5
	v_fmac_f32_e32 v1, 0xcf800000, v5
	v_cvt_u32_f32_e32 v5, v5
	v_cvt_u32_f32_e32 v1, v1
	v_mul_lo_u32 v8, s2, v5
	v_mul_hi_u32 v10, s2, v1
	v_mul_lo_u32 v9, s3, v1
	v_add_u32_e32 v10, v10, v8
	v_mul_lo_u32 v12, s2, v1
	v_add_u32_e32 v13, v10, v9
	v_mul_hi_u32 v8, v1, v12
	v_mul_hi_u32 v11, v1, v13
	v_mul_lo_u32 v10, v1, v13
	v_mov_b32_e32 v9, v4
	v_lshl_add_u64 v[8:9], v[8:9], 0, v[10:11]
	v_mul_hi_u32 v11, v5, v12
	v_mul_lo_u32 v12, v5, v12
	v_add_co_u32_e32 v8, vcc, v8, v12
	v_mul_hi_u32 v10, v5, v13
	s_nop 0
	v_addc_co_u32_e32 v8, vcc, v9, v11, vcc
	v_mov_b32_e32 v9, v4
	s_nop 0
	v_addc_co_u32_e32 v11, vcc, 0, v10, vcc
	v_mul_lo_u32 v10, v5, v13
	v_lshl_add_u64 v[8:9], v[8:9], 0, v[10:11]
	v_add_co_u32_e32 v1, vcc, v1, v8
	v_mul_lo_u32 v10, s2, v1
	s_nop 0
	v_addc_co_u32_e32 v5, vcc, v5, v9, vcc
	v_mul_lo_u32 v8, s2, v5
	v_mul_hi_u32 v9, s2, v1
	v_add_u32_e32 v8, v9, v8
	v_mul_lo_u32 v9, s3, v1
	v_add_u32_e32 v12, v8, v9
	v_mul_hi_u32 v14, v5, v10
	v_mul_lo_u32 v15, v5, v10
	v_mul_hi_u32 v9, v1, v12
	v_mul_lo_u32 v8, v1, v12
	v_mul_hi_u32 v10, v1, v10
	v_mov_b32_e32 v11, v4
	v_lshl_add_u64 v[8:9], v[10:11], 0, v[8:9]
	v_add_co_u32_e32 v8, vcc, v8, v15
	v_mul_hi_u32 v13, v5, v12
	s_nop 0
	v_addc_co_u32_e32 v8, vcc, v9, v14, vcc
	v_mul_lo_u32 v10, v5, v12
	s_nop 0
	v_addc_co_u32_e32 v11, vcc, 0, v13, vcc
	v_mov_b32_e32 v9, v4
	v_lshl_add_u64 v[8:9], v[8:9], 0, v[10:11]
	v_add_co_u32_e32 v1, vcc, v1, v8
	v_mul_hi_u32 v10, v6, v1
	s_nop 0
	v_addc_co_u32_e32 v5, vcc, v5, v9, vcc
	v_mad_u64_u32 v[8:9], s[2:3], v6, v5, 0
	v_mov_b32_e32 v11, v4
	v_lshl_add_u64 v[8:9], v[10:11], 0, v[8:9]
	v_mad_u64_u32 v[12:13], s[2:3], v7, v1, 0
	v_add_co_u32_e32 v1, vcc, v8, v12
	v_mad_u64_u32 v[10:11], s[2:3], v7, v5, 0
	s_nop 0
	v_addc_co_u32_e32 v8, vcc, v9, v13, vcc
	v_mov_b32_e32 v9, v4
	s_nop 0
	v_addc_co_u32_e32 v11, vcc, 0, v11, vcc
	v_lshl_add_u64 v[8:9], v[8:9], 0, v[10:11]
	v_mul_lo_u32 v1, s19, v8
	v_mul_lo_u32 v5, s18, v9
	v_mad_u64_u32 v[10:11], s[2:3], s18, v8, 0
	v_add3_u32 v1, v11, v5, v1
	v_sub_u32_e32 v5, v7, v1
	v_mov_b32_e32 v11, s19
	v_sub_co_u32_e32 v14, vcc, v6, v10
	v_lshl_add_u64 v[12:13], v[8:9], 0, 1
	s_nop 0
	v_subb_co_u32_e64 v5, s[2:3], v5, v11, vcc
	v_subrev_co_u32_e64 v10, s[2:3], s18, v14
	v_subb_co_u32_e32 v1, vcc, v7, v1, vcc
	s_nop 0
	v_subbrev_co_u32_e64 v5, s[2:3], 0, v5, s[2:3]
	v_cmp_le_u32_e64 s[2:3], s19, v5
	v_cmp_le_u32_e32 vcc, s19, v1
	s_nop 0
	v_cndmask_b32_e64 v11, 0, -1, s[2:3]
	v_cmp_le_u32_e64 s[2:3], s18, v10
	s_nop 1
	v_cndmask_b32_e64 v10, 0, -1, s[2:3]
	v_cmp_eq_u32_e64 s[2:3], s19, v5
	s_nop 1
	v_cndmask_b32_e64 v5, v11, v10, s[2:3]
	v_lshl_add_u64 v[10:11], v[8:9], 0, 2
	v_cmp_ne_u32_e64 s[2:3], 0, v5
	s_nop 1
	v_cndmask_b32_e64 v5, v13, v11, s[2:3]
	v_cndmask_b32_e64 v11, 0, -1, vcc
	v_cmp_le_u32_e32 vcc, s18, v14
	s_nop 1
	v_cndmask_b32_e64 v13, 0, -1, vcc
	v_cmp_eq_u32_e32 vcc, s19, v1
	s_nop 1
	v_cndmask_b32_e32 v1, v11, v13, vcc
	v_cmp_ne_u32_e32 vcc, 0, v1
	v_cndmask_b32_e64 v1, v12, v10, s[2:3]
	s_nop 0
	v_cndmask_b32_e32 v9, v9, v5, vcc
	v_cndmask_b32_e32 v8, v8, v1, vcc
.LBB0_4:                                ;   in Loop: Header=BB0_2 Depth=1
	s_andn2_saveexec_b64 s[2:3], s[20:21]
	s_cbranch_execz .LBB0_6
; %bb.5:                                ;   in Loop: Header=BB0_2 Depth=1
	v_cvt_f32_u32_e32 v1, s18
	s_sub_i32 s20, 0, s18
	v_rcp_iflag_f32_e32 v1, v1
	s_nop 0
	v_mul_f32_e32 v1, 0x4f7ffffe, v1
	v_cvt_u32_f32_e32 v1, v1
	v_mul_lo_u32 v5, s20, v1
	v_mul_hi_u32 v5, v1, v5
	v_add_u32_e32 v1, v1, v5
	v_mul_hi_u32 v1, v6, v1
	v_mul_lo_u32 v5, v1, s18
	v_sub_u32_e32 v5, v6, v5
	v_add_u32_e32 v8, 1, v1
	v_subrev_u32_e32 v9, s18, v5
	v_cmp_le_u32_e32 vcc, s18, v5
	s_nop 1
	v_cndmask_b32_e32 v5, v5, v9, vcc
	v_cndmask_b32_e32 v1, v1, v8, vcc
	v_add_u32_e32 v8, 1, v1
	v_cmp_le_u32_e32 vcc, s18, v5
	v_mov_b32_e32 v9, v4
	s_nop 0
	v_cndmask_b32_e32 v8, v1, v8, vcc
.LBB0_6:                                ;   in Loop: Header=BB0_2 Depth=1
	s_or_b64 exec, exec, s[2:3]
	v_mad_u64_u32 v[10:11], s[2:3], v8, s18, 0
	s_load_dwordx2 s[2:3], s[12:13], 0x0
	v_mul_lo_u32 v1, v9, s18
	v_mul_lo_u32 v5, v8, s19
	v_add3_u32 v1, v11, v5, v1
	v_sub_co_u32_e32 v5, vcc, v6, v10
	s_add_u32 s14, s14, 1
	s_nop 0
	v_subb_co_u32_e32 v1, vcc, v7, v1, vcc
	s_addc_u32 s15, s15, 0
	s_waitcnt lgkmcnt(0)
	v_mul_lo_u32 v1, s2, v1
	v_mul_lo_u32 v6, s3, v5
	v_mad_u64_u32 v[2:3], s[2:3], s2, v5, v[2:3]
	s_add_u32 s12, s12, 8
	v_add3_u32 v3, v6, v3, v1
	s_addc_u32 s13, s13, 0
	v_mov_b64_e32 v[6:7], s[6:7]
	s_add_u32 s16, s16, 8
	v_cmp_ge_u64_e32 vcc, s[14:15], v[6:7]
	s_addc_u32 s17, s17, 0
	s_cbranch_vccnz .LBB0_9
; %bb.7:                                ;   in Loop: Header=BB0_2 Depth=1
	v_mov_b64_e32 v[6:7], v[8:9]
	s_branch .LBB0_2
.LBB0_8:
	v_mov_b64_e32 v[8:9], v[6:7]
.LBB0_9:
	s_lshl_b64 s[2:3], s[6:7], 3
	s_add_u32 s2, s10, s2
	s_addc_u32 s3, s11, s3
	s_load_dwordx2 s[6:7], s[2:3], 0x0
	s_load_dwordx2 s[10:11], s[0:1], 0x20
	s_mov_b32 s2, 0x1745d18
                                        ; implicit-def: $vgpr11
                                        ; implicit-def: $vgpr5
                                        ; implicit-def: $vgpr17
                                        ; implicit-def: $vgpr10
                                        ; implicit-def: $vgpr19
                                        ; implicit-def: $vgpr20
                                        ; implicit-def: $vgpr21
                                        ; implicit-def: $vgpr12
                                        ; implicit-def: $vgpr22
                                        ; implicit-def: $vgpr13
                                        ; implicit-def: $vgpr14
                                        ; implicit-def: $vgpr15
	s_waitcnt lgkmcnt(0)
	v_mul_lo_u32 v1, s6, v9
	v_mul_lo_u32 v4, s7, v8
	v_mad_u64_u32 v[6:7], s[0:1], s6, v8, v[2:3]
	v_add3_u32 v7, v4, v7, v1
	v_mul_hi_u32 v1, v0, s2
	v_mul_u32_u24_e32 v1, 0xb0, v1
	v_cmp_gt_u64_e64 s[0:1], s[10:11], v[8:9]
	v_sub_u32_e32 v4, v0, v1
	v_mov_b32_e32 v2, 0
	v_lshl_add_u64 v[0:1], v[6:7], 2, s[8:9]
                                        ; implicit-def: $vgpr6
                                        ; implicit-def: $vgpr7
                                        ; implicit-def: $vgpr8
                                        ; implicit-def: $vgpr9
	s_and_saveexec_b64 s[2:3], s[0:1]
	s_cbranch_execz .LBB0_13
; %bb.10:
	v_mov_b32_e32 v5, 0
	v_lshl_add_u64 v[2:3], v[4:5], 2, v[0:1]
	global_load_dword v5, v[2:3], off
	global_load_dword v6, v[2:3], off offset:704
	global_load_dword v7, v[2:3], off offset:3168
	;; [unrolled: 1-line block ×5, first 2 shown]
	s_movk_i32 s6, 0x58
	v_cmp_gt_u32_e32 vcc, s6, v4
                                        ; implicit-def: $vgpr15
                                        ; implicit-def: $vgpr9
                                        ; implicit-def: $vgpr14
                                        ; implicit-def: $vgpr8
	s_and_saveexec_b64 s[6:7], vcc
	s_cbranch_execz .LBB0_12
; %bb.11:
	v_add_co_u32_e32 v8, vcc, 0x1000, v2
	s_nop 1
	v_addc_co_u32_e32 v9, vcc, 0, v3, vcc
	global_load_dword v14, v[2:3], off offset:2112
	global_load_dword v15, v[8:9], off offset:480
	s_waitcnt vmcnt(1)
	v_lshrrev_b32_e32 v8, 16, v14
	s_waitcnt vmcnt(0)
	v_lshrrev_b32_e32 v9, 16, v15
.LBB0_12:
	s_or_b64 exec, exec, s[6:7]
	s_waitcnt vmcnt(5)
	v_lshrrev_b32_e32 v11, 16, v5
	s_waitcnt vmcnt(1)
	v_lshrrev_b32_e32 v17, 16, v10
	v_lshrrev_b32_e32 v19, 16, v6
	;; [unrolled: 1-line block ×3, first 2 shown]
	s_waitcnt vmcnt(0)
	v_lshrrev_b32_e32 v21, 16, v12
	v_lshrrev_b32_e32 v22, 16, v13
	v_mov_b32_e32 v2, v4
.LBB0_13:
	s_or_b64 exec, exec, s[2:3]
	v_sub_f16_e32 v3, v5, v10
	v_fma_f16 v10, v5, 2.0, -v3
	v_sub_f16_e32 v16, v6, v7
	v_fma_f16 v18, v6, 2.0, -v16
	v_sub_f16_e32 v13, v12, v13
	v_lshl_add_u32 v23, v4, 2, 0
	v_pack_b32_f16 v3, v10, v3
	v_add_u32_e32 v24, 0xb0, v4
	v_fma_f16 v12, v12, 2.0, -v13
	ds_write_b32 v23, v3
	v_lshl_add_u32 v27, v24, 2, 0
	v_pack_b32_f16 v3, v18, v16
	v_sub_f16_e32 v5, v14, v15
	ds_write_b32 v27, v3
	v_add_u32_e32 v26, 0x160, v4
	v_pack_b32_f16 v3, v12, v13
	v_add_u32_e32 v12, 0x210, v4
	s_movk_i32 s2, 0x58
	v_fma_f16 v7, v14, 2.0, -v5
	v_lshlrev_b32_e32 v6, 1, v4
	v_lshl_add_u32 v28, v26, 2, 0
	v_cmp_gt_u32_e32 vcc, s2, v4
	v_lshl_add_u32 v25, v12, 2, 0
	ds_write_b32 v28, v3
	s_and_saveexec_b64 s[2:3], vcc
	s_cbranch_execz .LBB0_15
; %bb.14:
	s_mov_b32 s6, 0x5040100
	v_perm_b32 v3, v5, v7, s6
	ds_write_b32 v25, v3
.LBB0_15:
	s_or_b64 exec, exec, s[2:3]
	v_sub_u32_e32 v3, v23, v6
	s_waitcnt lgkmcnt(0)
	s_barrier
	ds_read_u16 v13, v3
	ds_read_u16 v14, v3 offset:352
	ds_read_u16 v10, v3 offset:1584
	;; [unrolled: 1-line block ×5, first 2 shown]
	s_and_saveexec_b64 s[2:3], vcc
	s_cbranch_execz .LBB0_17
; %bb.16:
	ds_read_u16 v7, v3 offset:1056
	ds_read_u16 v5, v3 offset:2288
.LBB0_17:
	s_or_b64 exec, exec, s[2:3]
	v_sub_f16_e32 v29, v11, v17
	v_sub_f16_e32 v20, v19, v20
	v_fma_f16 v11, v11, 2.0, -v29
	v_fma_f16 v30, v19, 2.0, -v20
	v_sub_f16_e32 v19, v8, v9
	v_sub_f16_e32 v22, v21, v22
	v_fma_f16 v17, v8, 2.0, -v19
	v_pack_b32_f16 v8, v11, v29
	v_fma_f16 v21, v21, 2.0, -v22
	s_waitcnt lgkmcnt(0)
	s_barrier
	ds_write_b32 v23, v8
	v_pack_b32_f16 v8, v30, v20
	ds_write_b32 v27, v8
	v_pack_b32_f16 v8, v21, v22
	ds_write_b32 v28, v8
	s_and_saveexec_b64 s[2:3], vcc
	s_cbranch_execz .LBB0_19
; %bb.18:
	s_mov_b32 s6, 0x5040100
	v_perm_b32 v8, v19, v17, s6
	ds_write_b32 v25, v8
.LBB0_19:
	s_or_b64 exec, exec, s[2:3]
	s_waitcnt lgkmcnt(0)
	s_barrier
	ds_read_u16 v22, v3
	ds_read_u16 v23, v3 offset:352
	ds_read_u16 v27, v3 offset:1584
	;; [unrolled: 1-line block ×5, first 2 shown]
	v_lshlrev_b32_e32 v8, 1, v24
	v_lshlrev_b32_e32 v9, 1, v26
	s_and_saveexec_b64 s[2:3], vcc
	s_cbranch_execz .LBB0_21
; %bb.20:
	ds_read_u16 v17, v3 offset:1056
	ds_read_u16 v19, v3 offset:2288
.LBB0_21:
	s_or_b64 exec, exec, s[2:3]
	v_and_b32_e32 v26, 1, v4
	v_lshlrev_b32_e32 v11, 2, v26
	global_load_dword v30, v11, s[4:5]
	s_movk_i32 s2, 0x1fc
	s_movk_i32 s6, 0x7fc
	;; [unrolled: 1-line block ×3, first 2 shown]
	v_and_or_b32 v11, v6, s2, v26
	v_and_or_b32 v21, v9, s6, v26
	;; [unrolled: 1-line block ×3, first 2 shown]
	v_lshl_add_u32 v33, v11, 1, 0
	v_lshl_add_u32 v31, v21, 1, 0
	;; [unrolled: 1-line block ×3, first 2 shown]
	s_waitcnt lgkmcnt(0)
	s_barrier
	s_waitcnt vmcnt(0)
	v_mul_f16_sdwa v11, v29, v30 dst_sel:DWORD dst_unused:UNUSED_PAD src0_sel:DWORD src1_sel:WORD_1
	v_mul_f16_sdwa v21, v28, v30 dst_sel:DWORD dst_unused:UNUSED_PAD src0_sel:DWORD src1_sel:WORD_1
	;; [unrolled: 1-line block ×4, first 2 shown]
	v_fma_f16 v11, v16, v30, v11
	v_fma_f16 v21, v15, v30, v21
	;; [unrolled: 1-line block ×4, first 2 shown]
	v_sub_f16_e32 v34, v13, v11
	v_sub_f16_e32 v21, v18, v21
	;; [unrolled: 1-line block ×4, first 2 shown]
	v_fma_f16 v24, v18, 2.0, -v21
	v_fma_f16 v18, v7, 2.0, -v11
	v_lshlrev_b32_e32 v7, 1, v12
	v_fma_f16 v13, v13, 2.0, -v34
	v_fma_f16 v14, v14, 2.0, -v20
	ds_write_b16 v33, v34 offset:4
	ds_write_b16 v33, v13
	ds_write_b16 v32, v14
	ds_write_b16 v32, v20 offset:4
	ds_write_b16 v31, v24
	ds_write_b16 v31, v21 offset:4
	s_and_saveexec_b64 s[2:3], vcc
	s_cbranch_execz .LBB0_23
; %bb.22:
	s_movk_i32 s6, 0x5fc
	v_and_or_b32 v12, v7, s6, v26
	v_lshl_add_u32 v12, v12, 1, 0
	ds_write_b16 v12, v18
	ds_write_b16 v12, v11 offset:4
.LBB0_23:
	s_or_b64 exec, exec, s[2:3]
	s_waitcnt lgkmcnt(0)
	s_barrier
	ds_read_u16 v20, v3
	ds_read_u16 v21, v3 offset:352
	ds_read_u16 v12, v3 offset:1584
	;; [unrolled: 1-line block ×5, first 2 shown]
	s_and_saveexec_b64 s[2:3], vcc
	s_cbranch_execz .LBB0_25
; %bb.24:
	ds_read_u16 v18, v3 offset:1056
	ds_read_u16 v11, v3 offset:2288
.LBB0_25:
	s_or_b64 exec, exec, s[2:3]
	v_mul_f16_sdwa v16, v16, v30 dst_sel:DWORD dst_unused:UNUSED_PAD src0_sel:DWORD src1_sel:WORD_1
	v_mul_f16_sdwa v5, v5, v30 dst_sel:DWORD dst_unused:UNUSED_PAD src0_sel:DWORD src1_sel:WORD_1
	v_fma_f16 v16, v29, v30, -v16
	v_mul_f16_sdwa v10, v10, v30 dst_sel:DWORD dst_unused:UNUSED_PAD src0_sel:DWORD src1_sel:WORD_1
	v_mul_f16_sdwa v15, v15, v30 dst_sel:DWORD dst_unused:UNUSED_PAD src0_sel:DWORD src1_sel:WORD_1
	v_fma_f16 v5, v19, v30, -v5
	v_fma_f16 v10, v27, v30, -v10
	v_fma_f16 v15, v28, v30, -v15
	v_sub_f16_e32 v19, v22, v16
	v_sub_f16_e32 v16, v17, v5
	v_fma_f16 v22, v22, 2.0, -v19
	v_sub_f16_e32 v10, v23, v10
	v_sub_f16_e32 v27, v25, v15
	v_fma_f16 v15, v17, 2.0, -v16
	v_fma_f16 v23, v23, 2.0, -v10
	;; [unrolled: 1-line block ×3, first 2 shown]
	s_waitcnt lgkmcnt(0)
	s_barrier
	ds_write_b16 v33, v22
	ds_write_b16 v33, v19 offset:4
	ds_write_b16 v32, v23
	ds_write_b16 v32, v10 offset:4
	;; [unrolled: 2-line block ×3, first 2 shown]
	s_and_saveexec_b64 s[2:3], vcc
	s_cbranch_execz .LBB0_27
; %bb.26:
	s_movk_i32 s6, 0x5fc
	v_and_or_b32 v5, v7, s6, v26
	v_lshl_add_u32 v5, v5, 1, 0
	ds_write_b16 v5, v15
	ds_write_b16 v5, v16 offset:4
.LBB0_27:
	s_or_b64 exec, exec, s[2:3]
	s_waitcnt lgkmcnt(0)
	s_barrier
	ds_read_u16 v22, v3
	ds_read_u16 v26, v3 offset:352
	ds_read_u16 v29, v3 offset:1584
	;; [unrolled: 1-line block ×5, first 2 shown]
	s_and_saveexec_b64 s[2:3], vcc
	s_cbranch_execz .LBB0_29
; %bb.28:
	ds_read_u16 v15, v3 offset:1056
	ds_read_u16 v16, v3 offset:2288
.LBB0_29:
	s_or_b64 exec, exec, s[2:3]
	v_and_b32_e32 v27, 3, v4
	v_lshlrev_b32_e32 v5, 2, v27
	global_load_dword v32, v5, s[4:5] offset:8
	s_movk_i32 s3, 0x3f8
	s_movk_i32 s2, 0x1f8
	;; [unrolled: 1-line block ×3, first 2 shown]
	v_and_or_b32 v10, v8, s3, v27
	v_and_or_b32 v5, v6, s2, v27
	;; [unrolled: 1-line block ×3, first 2 shown]
	v_lshl_add_u32 v34, v10, 1, 0
	v_lshl_add_u32 v35, v5, 1, 0
	;; [unrolled: 1-line block ×3, first 2 shown]
	s_waitcnt lgkmcnt(0)
	s_barrier
	s_waitcnt vmcnt(0)
	v_mul_f16_sdwa v10, v29, v32 dst_sel:DWORD dst_unused:UNUSED_PAD src0_sel:DWORD src1_sel:WORD_1
	v_mul_f16_sdwa v19, v16, v32 dst_sel:DWORD dst_unused:UNUSED_PAD src0_sel:DWORD src1_sel:WORD_1
	v_mul_f16_sdwa v5, v31, v32 dst_sel:DWORD dst_unused:UNUSED_PAD src0_sel:DWORD src1_sel:WORD_1
	v_mul_f16_sdwa v17, v30, v32 dst_sel:DWORD dst_unused:UNUSED_PAD src0_sel:DWORD src1_sel:WORD_1
	v_fma_f16 v10, v12, v32, v10
	v_fma_f16 v19, v11, v32, v19
	;; [unrolled: 1-line block ×4, first 2 shown]
	v_sub_f16_e32 v23, v21, v10
	v_sub_f16_e32 v10, v18, v19
	;; [unrolled: 1-line block ×4, first 2 shown]
	v_fma_f16 v17, v18, 2.0, -v10
	v_fma_f16 v19, v20, 2.0, -v5
	;; [unrolled: 1-line block ×4, first 2 shown]
	ds_write_b16 v35, v5 offset:8
	ds_write_b16 v35, v19
	ds_write_b16 v34, v20
	ds_write_b16 v34, v23 offset:8
	ds_write_b16 v33, v21
	ds_write_b16 v33, v25 offset:8
	s_and_saveexec_b64 s[2:3], vcc
	s_cbranch_execz .LBB0_31
; %bb.30:
	s_movk_i32 s6, 0x5f8
	v_and_or_b32 v5, v7, s6, v27
	v_lshl_add_u32 v5, v5, 1, 0
	ds_write_b16 v5, v17
	ds_write_b16 v5, v10 offset:8
.LBB0_31:
	s_or_b64 exec, exec, s[2:3]
	s_waitcnt lgkmcnt(0)
	s_barrier
	ds_read_u16 v21, v3
	ds_read_u16 v23, v3 offset:352
	ds_read_u16 v18, v3 offset:1584
	;; [unrolled: 1-line block ×5, first 2 shown]
	v_lshl_add_u32 v5, v4, 1, 0
	s_and_saveexec_b64 s[2:3], vcc
	s_cbranch_execz .LBB0_33
; %bb.32:
	ds_read_u16 v17, v5 offset:1056
	ds_read_u16 v10, v3 offset:2288
.LBB0_33:
	s_or_b64 exec, exec, s[2:3]
	v_mul_f16_sdwa v14, v14, v32 dst_sel:DWORD dst_unused:UNUSED_PAD src0_sel:DWORD src1_sel:WORD_1
	v_mul_f16_sdwa v11, v11, v32 dst_sel:DWORD dst_unused:UNUSED_PAD src0_sel:DWORD src1_sel:WORD_1
	v_fma_f16 v14, v31, v32, -v14
	v_mul_f16_sdwa v12, v12, v32 dst_sel:DWORD dst_unused:UNUSED_PAD src0_sel:DWORD src1_sel:WORD_1
	v_mul_f16_sdwa v13, v13, v32 dst_sel:DWORD dst_unused:UNUSED_PAD src0_sel:DWORD src1_sel:WORD_1
	v_fma_f16 v11, v16, v32, -v11
	v_fma_f16 v12, v29, v32, -v12
	;; [unrolled: 1-line block ×3, first 2 shown]
	v_sub_f16_e32 v14, v22, v14
	v_sub_f16_e32 v24, v15, v11
	v_fma_f16 v16, v22, 2.0, -v14
	v_sub_f16_e32 v12, v26, v12
	v_sub_f16_e32 v13, v28, v13
	v_fma_f16 v22, v15, 2.0, -v24
	v_fma_f16 v26, v26, 2.0, -v12
	;; [unrolled: 1-line block ×3, first 2 shown]
	s_waitcnt lgkmcnt(0)
	s_barrier
	ds_write_b16 v35, v16
	ds_write_b16 v35, v14 offset:8
	ds_write_b16 v34, v26
	ds_write_b16 v34, v12 offset:8
	;; [unrolled: 2-line block ×3, first 2 shown]
	s_and_saveexec_b64 s[2:3], vcc
	s_cbranch_execz .LBB0_35
; %bb.34:
	s_movk_i32 s6, 0x5f8
	v_and_or_b32 v11, v7, s6, v27
	v_lshl_add_u32 v11, v11, 1, 0
	ds_write_b16 v11, v22
	ds_write_b16 v11, v24 offset:8
.LBB0_35:
	s_or_b64 exec, exec, s[2:3]
	s_waitcnt lgkmcnt(0)
	s_barrier
	ds_read_u16 v26, v3
	ds_read_u16 v27, v3 offset:352
	ds_read_u16 v30, v3 offset:1584
	;; [unrolled: 1-line block ×5, first 2 shown]
	s_and_saveexec_b64 s[2:3], vcc
	s_cbranch_execz .LBB0_37
; %bb.36:
	ds_read_u16 v22, v5 offset:1056
	ds_read_u16 v24, v3 offset:2288
.LBB0_37:
	s_or_b64 exec, exec, s[2:3]
	v_and_b32_e32 v28, 7, v4
	v_lshlrev_b32_e32 v11, 2, v28
	global_load_dword v33, v11, s[4:5] offset:24
	s_movk_i32 s2, 0x1f0
	s_movk_i32 s3, 0x3f0
	;; [unrolled: 1-line block ×3, first 2 shown]
	v_and_or_b32 v6, v6, s2, v28
	v_and_or_b32 v8, v8, s3, v28
	;; [unrolled: 1-line block ×3, first 2 shown]
	v_lshl_add_u32 v35, v6, 1, 0
	v_lshl_add_u32 v34, v8, 1, 0
	v_lshl_add_u32 v6, v9, 1, 0
	s_waitcnt lgkmcnt(0)
	s_barrier
	s_waitcnt vmcnt(0)
	v_mul_f16_sdwa v8, v32, v33 dst_sel:DWORD dst_unused:UNUSED_PAD src0_sel:DWORD src1_sel:WORD_1
	v_mul_f16_sdwa v9, v30, v33 dst_sel:DWORD dst_unused:UNUSED_PAD src0_sel:DWORD src1_sel:WORD_1
	;; [unrolled: 1-line block ×4, first 2 shown]
	v_fma_f16 v8, v20, v33, v8
	v_fma_f16 v9, v18, v33, v9
	v_fma_f16 v11, v19, v33, v11
	v_fma_f16 v14, v10, v33, v12
	v_sub_f16_e32 v13, v21, v8
	v_sub_f16_e32 v12, v23, v9
	;; [unrolled: 1-line block ×4, first 2 shown]
	v_fma_f16 v9, v21, 2.0, -v13
	v_fma_f16 v15, v23, 2.0, -v12
	;; [unrolled: 1-line block ×4, first 2 shown]
	ds_write_b16 v35, v13 offset:16
	ds_write_b16 v35, v9
	ds_write_b16 v34, v15
	ds_write_b16 v34, v12 offset:16
	ds_write_b16 v6, v14
	ds_write_b16 v6, v11 offset:16
	s_and_saveexec_b64 s[2:3], vcc
	s_cbranch_execz .LBB0_39
; %bb.38:
	s_movk_i32 s6, 0x5f0
	v_and_or_b32 v8, v7, s6, v28
	v_lshl_add_u32 v8, v8, 1, 0
	ds_write_b16 v8, v17
	ds_write_b16 v8, v16 offset:16
.LBB0_39:
	s_or_b64 exec, exec, s[2:3]
	s_movk_i32 s2, 0x70
	v_cmp_gt_u32_e64 s[2:3], s2, v4
	s_waitcnt lgkmcnt(0)
	s_barrier
	s_waitcnt lgkmcnt(0)
                                        ; implicit-def: $vgpr21
                                        ; implicit-def: $vgpr23
                                        ; implicit-def: $vgpr25
	s_and_saveexec_b64 s[6:7], s[2:3]
	s_cbranch_execz .LBB0_41
; %bb.40:
	ds_read_u16 v9, v3
	ds_read_u16 v13, v3 offset:224
	ds_read_u16 v15, v3 offset:448
	;; [unrolled: 1-line block ×10, first 2 shown]
.LBB0_41:
	s_or_b64 exec, exec, s[6:7]
	v_mul_f16_sdwa v8, v20, v33 dst_sel:DWORD dst_unused:UNUSED_PAD src0_sel:DWORD src1_sel:WORD_1
	v_mul_f16_sdwa v18, v18, v33 dst_sel:DWORD dst_unused:UNUSED_PAD src0_sel:DWORD src1_sel:WORD_1
	;; [unrolled: 1-line block ×4, first 2 shown]
	v_fma_f16 v8, v32, v33, -v8
	v_fma_f16 v18, v30, v33, -v18
	;; [unrolled: 1-line block ×4, first 2 shown]
	v_sub_f16_e32 v20, v26, v8
	v_sub_f16_e32 v10, v27, v18
	;; [unrolled: 1-line block ×4, first 2 shown]
	v_fma_f16 v8, v26, 2.0, -v20
	v_fma_f16 v24, v27, 2.0, -v10
	;; [unrolled: 1-line block ×4, first 2 shown]
	s_waitcnt lgkmcnt(0)
	s_barrier
	ds_write_b16 v35, v8
	ds_write_b16 v35, v20 offset:16
	ds_write_b16 v34, v24
	ds_write_b16 v34, v10 offset:16
	;; [unrolled: 2-line block ×3, first 2 shown]
	s_and_saveexec_b64 s[6:7], vcc
	s_cbranch_execz .LBB0_43
; %bb.42:
	s_movk_i32 s8, 0x5f0
	v_and_or_b32 v6, v7, s8, v28
	v_lshl_add_u32 v6, v6, 1, 0
	ds_write_b16 v6, v26
	ds_write_b16 v6, v18 offset:16
.LBB0_43:
	s_or_b64 exec, exec, s[6:7]
	s_waitcnt lgkmcnt(0)
	s_barrier
	s_waitcnt lgkmcnt(0)
                                        ; implicit-def: $vgpr7
                                        ; implicit-def: $vgpr31
                                        ; implicit-def: $vgpr30
	s_and_saveexec_b64 s[6:7], s[2:3]
	s_cbranch_execz .LBB0_45
; %bb.44:
	ds_read_u16 v8, v3
	ds_read_u16 v20, v3 offset:224
	ds_read_u16 v24, v3 offset:448
	;; [unrolled: 1-line block ×10, first 2 shown]
.LBB0_45:
	s_or_b64 exec, exec, s[6:7]
	v_and_b32_e32 v6, 15, v4
	v_mul_u32_u24_e32 v22, 10, v6
	v_lshlrev_b32_e32 v22, 2, v22
	global_load_dwordx4 v[34:37], v22, s[4:5] offset:56
	global_load_dwordx4 v[38:41], v22, s[4:5] offset:72
	global_load_dwordx2 v[42:43], v22, s[4:5] offset:88
	s_waitcnt lgkmcnt(0)
	s_barrier
	s_waitcnt vmcnt(2)
	v_mul_f16_sdwa v22, v20, v34 dst_sel:DWORD dst_unused:UNUSED_PAD src0_sel:DWORD src1_sel:WORD_1
	v_mul_f16_sdwa v28, v13, v34 dst_sel:DWORD dst_unused:UNUSED_PAD src0_sel:DWORD src1_sel:WORD_1
	;; [unrolled: 1-line block ×8, first 2 shown]
	s_waitcnt vmcnt(1)
	v_mul_f16_sdwa v49, v19, v38 dst_sel:DWORD dst_unused:UNUSED_PAD src0_sel:DWORD src1_sel:WORD_1
	v_mul_f16_sdwa v50, v11, v38 dst_sel:DWORD dst_unused:UNUSED_PAD src0_sel:DWORD src1_sel:WORD_1
	;; [unrolled: 1-line block ×8, first 2 shown]
	s_waitcnt vmcnt(0)
	v_mul_f16_sdwa v57, v31, v42 dst_sel:DWORD dst_unused:UNUSED_PAD src0_sel:DWORD src1_sel:WORD_1
	v_mul_f16_sdwa v58, v23, v42 dst_sel:DWORD dst_unused:UNUSED_PAD src0_sel:DWORD src1_sel:WORD_1
	;; [unrolled: 1-line block ×4, first 2 shown]
	v_fma_f16 v32, v13, v34, v22
	v_fma_f16 v33, v20, v34, -v28
	v_fma_f16 v28, v15, v35, v29
	v_fma_f16 v29, v24, v35, -v44
	;; [unrolled: 2-line block ×10, first 2 shown]
	v_lshrrev_b32_e32 v7, 4, v4
	s_and_saveexec_b64 s[6:7], s[2:3]
	s_cbranch_execz .LBB0_47
; %bb.46:
	v_sub_f16_e32 v20, v33, v35
	v_add_f16_e32 v19, v32, v34
	v_mul_f16_e32 v21, 0xb482, v20
	s_mov_b32 s8, 0xbbad
	v_sub_f16_e32 v36, v29, v31
	v_fma_f16 v23, v19, s8, -v21
	v_add_f16_e32 v25, v28, v30
	v_mul_f16_e32 v37, 0x3853, v36
	s_movk_i32 s9, 0x3abb
	v_add_f16_e32 v23, v9, v23
	v_fma_f16 v38, v25, s9, -v37
	v_sub_f16_e32 v39, v24, v27
	v_add_f16_e32 v23, v38, v23
	v_add_f16_e32 v38, v22, v26
	v_mul_f16_e32 v40, 0xba0c, v39
	s_mov_b32 s10, 0xb93d
	v_fma_f16 v41, v38, s10, -v40
	v_sub_f16_e32 v42, v15, v17
	v_fma_f16 v21, v19, s8, v21
	v_add_f16_e32 v23, v41, v23
	v_add_f16_e32 v41, v14, v16
	v_mul_f16_e32 v43, 0x3b47, v42
	s_movk_i32 s11, 0x36a6
	v_add_f16_e32 v21, v9, v21
	v_fma_f16 v37, v25, s9, v37
	v_fma_f16 v44, v41, s11, -v43
	v_sub_f16_e32 v45, v11, v13
	v_add_f16_e32 v21, v37, v21
	v_fma_f16 v37, v38, s10, v40
	v_add_f16_e32 v23, v44, v23
	v_add_f16_e32 v44, v10, v12
	v_mul_f16_e32 v46, 0xbbeb, v45
	s_mov_b32 s12, 0xb08e
	v_add_f16_e32 v21, v37, v21
	v_fma_f16 v37, v41, s11, v43
	v_add_f16_e32 v21, v37, v21
	v_fma_f16 v37, v44, s12, v46
	v_add_f16_e32 v21, v37, v21
	v_mul_f16_e32 v37, 0xba0c, v20
	v_fma_f16 v40, v19, s10, -v37
	v_mul_f16_e32 v43, 0x3beb, v36
	v_fma_f16 v47, v44, s12, -v46
	v_add_f16_e32 v40, v9, v40
	v_fma_f16 v46, v25, s12, -v43
	v_add_f16_e32 v40, v46, v40
	v_mul_f16_e32 v46, 0xb853, v39
	v_add_f16_e32 v23, v47, v23
	v_fma_f16 v47, v38, s9, -v46
	v_fma_f16 v37, v19, s10, v37
	v_add_f16_e32 v40, v47, v40
	v_mul_f16_e32 v47, 0xb482, v42
	v_add_f16_e32 v37, v9, v37
	v_fma_f16 v43, v25, s12, v43
	v_fma_f16 v48, v41, s8, -v47
	v_add_f16_e32 v37, v43, v37
	v_fma_f16 v43, v38, s9, v46
	v_add_f16_e32 v40, v48, v40
	v_mul_f16_e32 v48, 0x3b47, v45
	v_add_f16_e32 v37, v43, v37
	v_fma_f16 v43, v41, s8, v47
	v_add_f16_e32 v37, v43, v37
	v_fma_f16 v43, v44, s11, v48
	v_add_f16_e32 v37, v43, v37
	v_mul_f16_e32 v43, 0xbbeb, v20
	v_fma_f16 v46, v19, s12, -v43
	v_mul_f16_e32 v47, 0x3482, v36
	v_fma_f16 v49, v44, s11, -v48
	v_add_f16_e32 v46, v9, v46
	v_fma_f16 v48, v25, s8, -v47
	v_add_f16_e32 v46, v48, v46
	v_mul_f16_e32 v48, 0x3b47, v39
	v_add_f16_e32 v40, v49, v40
	v_fma_f16 v49, v38, s11, -v48
	v_fma_f16 v43, v19, s12, v43
	v_add_f16_e32 v46, v49, v46
	v_mul_f16_e32 v49, 0xb853, v42
	v_add_f16_e32 v43, v9, v43
	v_fma_f16 v47, v25, s8, v47
	v_fma_f16 v50, v41, s9, -v49
	v_add_f16_e32 v43, v47, v43
	v_fma_f16 v47, v38, s11, v48
	v_add_f16_e32 v46, v50, v46
	v_mul_f16_e32 v50, 0xba0c, v45
	v_add_f16_e32 v43, v47, v43
	v_fma_f16 v47, v41, s9, v49
	v_add_f16_e32 v43, v47, v43
	v_fma_f16 v47, v44, s10, v50
	v_add_f16_e32 v43, v47, v43
	v_mul_f16_e32 v47, 0xbb47, v20
	v_fma_f16 v48, v19, s11, -v47
	v_mul_f16_e32 v49, 0xba0c, v36
	v_fma_f16 v51, v44, s10, -v50
	v_add_f16_e32 v48, v9, v48
	v_fma_f16 v50, v25, s10, -v49
	v_add_f16_e32 v48, v50, v48
	v_mul_f16_e32 v50, 0x3482, v39
	v_add_f16_e32 v46, v51, v46
	v_fma_f16 v51, v38, s8, -v50
	v_fma_f16 v47, v19, s11, v47
	v_add_f16_e32 v48, v51, v48
	v_mul_f16_e32 v51, 0x3beb, v42
	v_add_f16_e32 v47, v9, v47
	v_fma_f16 v49, v25, s10, v49
	v_fma_f16 v52, v41, s12, -v51
	v_add_f16_e32 v47, v49, v47
	v_fma_f16 v49, v38, s8, v50
	v_add_f16_e32 v18, v9, v32
	v_add_f16_e32 v48, v52, v48
	v_mul_f16_e32 v52, 0x3853, v45
	v_add_f16_e32 v47, v49, v47
	v_fma_f16 v49, v41, s12, v51
	v_add_f16_e32 v18, v18, v28
	v_add_f16_e32 v47, v49, v47
	v_fma_f16 v49, v44, s9, v52
	v_mul_f16_e32 v20, 0xb853, v20
	v_add_f16_e32 v18, v18, v22
	v_add_f16_e32 v47, v49, v47
	v_fma_f16 v49, v19, s9, -v20
	v_mul_f16_e32 v36, 0xbb47, v36
	v_fma_f16 v19, v19, s9, v20
	v_add_f16_e32 v18, v18, v14
	v_add_f16_e32 v49, v9, v49
	v_mul_f16_e32 v39, 0xbbeb, v39
	v_add_f16_e32 v9, v9, v19
	v_fma_f16 v19, v25, s11, v36
	v_add_f16_e32 v18, v18, v10
	v_mul_f16_e32 v42, 0xba0c, v42
	v_add_f16_e32 v9, v19, v9
	v_fma_f16 v19, v38, s12, v39
	;; [unrolled: 4-line block ×3, first 2 shown]
	v_add_f16_e32 v18, v18, v16
	v_fma_f16 v50, v25, s11, -v36
	v_add_f16_e32 v9, v19, v9
	v_fma_f16 v19, v44, s8, v45
	v_add_f16_e32 v18, v18, v26
	v_add_f16_e32 v49, v50, v49
	v_fma_f16 v50, v38, s12, -v39
	v_add_f16_e32 v9, v19, v9
	v_mul_u32_u24_e32 v19, 0xb0, v7
	v_add_f16_e32 v18, v18, v30
	v_add_f16_e32 v49, v50, v49
	v_fma_f16 v50, v41, s10, -v42
	v_or_b32_e32 v19, v19, v6
	v_add_f16_e32 v18, v18, v34
	v_fma_f16 v53, v44, s9, -v52
	v_add_f16_e32 v49, v50, v49
	v_fma_f16 v50, v44, s8, -v45
	v_lshl_add_u32 v19, v19, 1, 0
	v_add_f16_e32 v48, v53, v48
	v_add_f16_e32 v49, v50, v49
	ds_write_b16 v19, v18
	ds_write_b16 v19, v9 offset:32
	ds_write_b16 v19, v47 offset:64
	;; [unrolled: 1-line block ×10, first 2 shown]
.LBB0_47:
	s_or_b64 exec, exec, s[6:7]
	s_waitcnt lgkmcnt(0)
	s_barrier
	ds_read_u16 v9, v3
	ds_read_u16 v19, v3 offset:352
	ds_read_u16 v18, v3 offset:704
	;; [unrolled: 1-line block ×6, first 2 shown]
	s_waitcnt lgkmcnt(0)
	s_barrier
	s_and_saveexec_b64 s[6:7], s[2:3]
	s_cbranch_execz .LBB0_49
; %bb.48:
	v_add_f16_e32 v36, v8, v33
	v_add_f16_e32 v36, v36, v29
	;; [unrolled: 1-line block ×10, first 2 shown]
	v_sub_f16_e32 v32, v32, v34
	v_mul_f16_e32 v34, 0x3abb, v33
	s_movk_i32 s2, 0x3853
	s_mov_b32 s3, 0xb853
	v_mul_f16_e32 v37, 0x36a6, v33
	s_movk_i32 s8, 0x3b47
	s_mov_b32 s9, 0xbb47
	v_mul_f16_e32 v39, 0xb08e, v33
	s_movk_i32 s10, 0x3beb
	s_mov_b32 s11, 0xbbeb
	v_mul_f16_e32 v41, 0xb93d, v33
	s_movk_i32 s12, 0x3a0c
	s_mov_b32 s13, 0xba0c
	v_mul_f16_e32 v33, 0xbbad, v33
	s_movk_i32 s14, 0x3482
	s_mov_b32 s15, 0xb482
	v_add_f16_e32 v29, v29, v31
	v_add_f16_e32 v36, v36, v35
	v_fma_f16 v35, v32, s2, v34
	v_fma_f16 v34, v32, s3, v34
	;; [unrolled: 1-line block ×10, first 2 shown]
	v_sub_f16_e32 v28, v28, v30
	v_mul_f16_e32 v30, 0x36a6, v29
	v_add_f16_e32 v35, v8, v35
	v_add_f16_e32 v34, v8, v34
	;; [unrolled: 1-line block ×10, first 2 shown]
	v_fma_f16 v31, v28, s8, v30
	v_fma_f16 v30, v28, s9, v30
	v_mul_f16_e32 v32, 0xb93d, v29
	v_add_f16_e32 v30, v30, v34
	v_fma_f16 v33, v28, s12, v32
	v_fma_f16 v32, v28, s13, v32
	v_mul_f16_e32 v34, 0xbbad, v29
	v_add_f16_e32 v31, v31, v35
	v_add_f16_e32 v32, v32, v37
	v_fma_f16 v35, v28, s15, v34
	v_fma_f16 v34, v28, s14, v34
	v_mul_f16_e32 v37, 0xb08e, v29
	v_mul_f16_e32 v29, 0x3abb, v29
	v_add_f16_e32 v24, v24, v27
	v_add_f16_e32 v33, v33, v38
	v_add_f16_e32 v34, v34, v39
	v_fma_f16 v38, v28, s11, v37
	v_fma_f16 v37, v28, s10, v37
	v_fma_f16 v39, v28, s3, v29
	v_fma_f16 v28, v28, s2, v29
	v_sub_f16_e32 v22, v22, v26
	v_mul_f16_e32 v26, 0xb08e, v24
	v_add_f16_e32 v8, v28, v8
	v_fma_f16 v27, v22, s10, v26
	v_fma_f16 v26, v22, s11, v26
	v_mul_f16_e32 v28, 0xbbad, v24
	v_add_f16_e32 v26, v26, v30
	v_fma_f16 v29, v22, s15, v28
	v_fma_f16 v28, v22, s14, v28
	v_mul_f16_e32 v30, 0x36a6, v24
	v_add_f16_e32 v27, v27, v31
	v_add_f16_e32 v28, v28, v32
	v_fma_f16 v31, v22, s9, v30
	v_fma_f16 v30, v22, s8, v30
	v_mul_f16_e32 v32, 0x3abb, v24
	v_mul_f16_e32 v24, 0xb93d, v24
	v_add_f16_e32 v15, v15, v17
	v_add_f16_e32 v29, v29, v33
	v_add_f16_e32 v30, v30, v34
	v_fma_f16 v33, v22, s2, v32
	v_fma_f16 v32, v22, s3, v32
	v_fma_f16 v34, v22, s12, v24
	v_fma_f16 v22, v22, s13, v24
	v_sub_f16_e32 v14, v14, v16
	v_mul_f16_e32 v16, 0xb93d, v15
	v_add_f16_e32 v8, v22, v8
	;; [unrolled: 23-line block ×3, first 2 shown]
	v_fma_f16 v13, v10, s14, v12
	v_fma_f16 v12, v10, s15, v12
	v_mul_f16_e32 v14, 0x3abb, v11
	v_add_f16_e32 v35, v35, v40
	v_add_f16_e32 v38, v38, v42
	;; [unrolled: 1-line block ×5, first 2 shown]
	v_fma_f16 v15, v10, s3, v14
	v_fma_f16 v14, v10, s2, v14
	v_mul_f16_e32 v16, 0xb93d, v11
	v_mul_u32_u24_e32 v7, 0xb0, v7
	v_add_f16_e32 v31, v31, v35
	v_add_f16_e32 v33, v33, v38
	;; [unrolled: 1-line block ×6, first 2 shown]
	v_fma_f16 v17, v10, s12, v16
	v_fma_f16 v16, v10, s13, v16
	v_mul_f16_e32 v22, 0x36a6, v11
	v_mul_f16_e32 v11, 0xb08e, v11
	v_or_b32_e32 v6, v7, v6
	v_add_f16_e32 v27, v27, v31
	v_add_f16_e32 v29, v29, v33
	;; [unrolled: 1-line block ×6, first 2 shown]
	v_fma_f16 v24, v10, s9, v22
	v_fma_f16 v22, v10, s8, v22
	;; [unrolled: 1-line block ×4, first 2 shown]
	v_lshl_add_u32 v6, v6, 1, 0
	v_add_f16_e32 v17, v17, v27
	v_add_f16_e32 v24, v24, v29
	;; [unrolled: 1-line block ×5, first 2 shown]
	ds_write_b16 v6, v36
	ds_write_b16 v6, v13 offset:32
	ds_write_b16 v6, v15 offset:64
	;; [unrolled: 1-line block ×10, first 2 shown]
.LBB0_49:
	s_or_b64 exec, exec, s[6:7]
	s_waitcnt lgkmcnt(0)
	s_barrier
	s_and_saveexec_b64 s[2:3], s[0:1]
	s_cbranch_execz .LBB0_51
; %bb.50:
	v_mul_u32_u24_e32 v4, 6, v4
	v_lshlrev_b32_e32 v4, 2, v4
	global_load_dwordx4 v[10:13], v4, s[4:5] offset:696
	global_load_dwordx2 v[6:7], v4, s[4:5] offset:712
	ds_read_u16 v4, v5 offset:1056
	ds_read_u16 v5, v3 offset:2112
	;; [unrolled: 1-line block ×6, first 2 shown]
	ds_read_u16 v3, v3
	s_mov_b32 s0, 0xb574
	s_movk_i32 s2, 0x3a52
	s_mov_b32 s1, 0xb70e
	s_mov_b32 s3, 0xbcab
	s_waitcnt vmcnt(1)
	v_lshrrev_b32_e32 v17, 16, v10
	v_lshrrev_b32_e32 v22, 16, v11
	;; [unrolled: 1-line block ×4, first 2 shown]
	v_mul_f16_e32 v27, v19, v10
	s_waitcnt vmcnt(0)
	v_lshrrev_b32_e32 v28, 16, v6
	v_lshrrev_b32_e32 v29, 16, v7
	v_mul_f16_e32 v30, v25, v7
	v_mul_f16_e32 v31, v20, v13
	;; [unrolled: 1-line block ×5, first 2 shown]
	s_waitcnt lgkmcnt(1)
	v_fma_f16 v27, v16, v17, v27
	v_fma_f16 v30, v5, v29, v30
	;; [unrolled: 1-line block ×6, first 2 shown]
	v_mul_f16_e32 v25, v25, v29
	v_mul_f16_e32 v17, v19, v17
	;; [unrolled: 1-line block ×6, first 2 shown]
	v_sub_f16_e32 v22, v27, v30
	v_sub_f16_e32 v23, v31, v32
	;; [unrolled: 1-line block ×3, first 2 shown]
	v_fma_f16 v5, v5, v7, -v25
	v_fma_f16 v7, v16, v10, -v17
	;; [unrolled: 1-line block ×6, first 2 shown]
	v_add_f16_e32 v11, v27, v30
	v_add_f16_e32 v12, v31, v32
	;; [unrolled: 1-line block ×3, first 2 shown]
	v_sub_f16_e32 v14, v22, v23
	v_sub_f16_e32 v15, v23, v24
	v_add_f16_e32 v16, v23, v24
	v_add_f16_e32 v17, v7, v5
	;; [unrolled: 1-line block ×4, first 2 shown]
	v_sub_f16_e32 v21, v12, v13
	v_add_f16_e32 v23, v11, v13
	v_sub_f16_e32 v5, v7, v5
	v_sub_f16_e32 v4, v10, v4
	;; [unrolled: 1-line block ×4, first 2 shown]
	v_mul_f16_e32 v7, 0x3846, v15
	v_add_f16_e32 v8, v22, v16
	v_sub_f16_e32 v15, v18, v19
	v_add_f16_e32 v16, v17, v19
	v_mul_f16_e32 v21, 0x2b26, v21
	v_add_f16_e32 v12, v12, v23
	v_sub_f16_e32 v23, v5, v4
	v_sub_f16_e32 v26, v4, v6
	v_add_f16_e32 v4, v4, v6
	v_sub_f16_e32 v10, v17, v18
	v_mul_f16_e32 v25, 0x3a52, v20
	v_fma_f16 v27, v14, s0, v7
	v_mul_f16_e32 v15, 0x2b26, v15
	v_add_f16_e32 v16, v18, v16
	v_fma_f16 v18, v20, s2, v21
	v_add_f16_e32 v9, v9, v12
	v_mul_f16_e32 v20, 0x3846, v26
	v_add_f16_e32 v4, v5, v4
	v_sub_f16_e32 v22, v24, v22
	v_sub_f16_e32 v5, v6, v5
	v_mul_f16_e32 v28, 0x3a52, v10
	v_fma_f16 v26, v8, s1, v27
	v_fma_f16 v10, v10, s2, v15
	s_waitcnt lgkmcnt(0)
	v_add_f16_e32 v27, v3, v16
	v_fma_f16 v3, v12, s3, v9
	v_fma_f16 v12, v23, s0, v20
	s_mov_b32 s0, 0xbb00
	v_mul_f16_e32 v24, 0xbb00, v22
	s_movk_i32 s2, 0x3574
	v_mul_f16_e32 v6, 0xbb00, v5
	v_fma_f16 v16, v16, s3, v27
	v_fma_f16 v14, v14, s2, -v24
	s_mov_b32 s3, 0xb9e0
	v_sub_f16_e32 v11, v13, v11
	v_fma_f16 v6, v23, s2, -v6
	s_movk_i32 s2, 0x39e0
	v_fma_f16 v5, v5, s0, -v20
	v_fma_f16 v12, v4, s1, v12
	v_fma_f16 v13, v11, s3, -v25
	v_fma_f16 v6, v4, s1, v6
	v_fma_f16 v4, v4, s1, v5
	v_fma_f16 v5, v11, s2, -v21
	v_add_f16_e32 v18, v18, v3
	v_sub_f16_e32 v17, v19, v17
	v_add_f16_e32 v13, v13, v3
	v_add_f16_e32 v3, v5, v3
	;; [unrolled: 1-line block ×3, first 2 shown]
	v_fma_f16 v19, v17, s3, -v28
	v_add_f16_e32 v5, v4, v3
	v_sub_f16_e32 v4, v3, v4
	v_mov_b32_e32 v3, 0
	v_add_f16_e32 v29, v26, v10
	v_sub_f16_e32 v30, v18, v12
	v_fma_f16 v14, v8, s1, v14
	v_add_f16_e32 v19, v19, v16
	v_fma_f16 v15, v17, s2, -v15
	v_fma_f16 v7, v22, s0, -v7
	v_sub_f16_e32 v10, v10, v26
	v_add_f16_e32 v12, v12, v18
	v_lshl_add_u64 v[0:1], v[2:3], 2, v[0:1]
	v_pack_b32_f16 v2, v9, v27
	v_sub_f16_e32 v23, v13, v6
	v_add_f16_e32 v15, v15, v16
	v_fma_f16 v7, v8, s1, v7
	v_sub_f16_e32 v11, v19, v14
	v_add_f16_e32 v6, v6, v13
	global_store_dword v[0:1], v2, off
	v_pack_b32_f16 v2, v12, v10
	v_sub_f16_e32 v8, v15, v7
	v_add_f16_e32 v7, v7, v15
	global_store_dword v[0:1], v2, off offset:704
	v_pack_b32_f16 v2, v6, v11
	global_store_dword v[0:1], v2, off offset:1408
	v_pack_b32_f16 v2, v4, v7
	v_add_f16_e32 v24, v14, v19
	global_store_dword v[0:1], v2, off offset:2112
	v_pack_b32_f16 v2, v5, v8
	global_store_dword v[0:1], v2, off offset:2816
	v_pack_b32_f16 v2, v23, v24
	global_store_dword v[0:1], v2, off offset:3520
	v_add_co_u32_e32 v0, vcc, 0x1000, v0
	v_pack_b32_f16 v2, v30, v29
	s_nop 0
	v_addc_co_u32_e32 v1, vcc, 0, v1, vcc
	global_store_dword v[0:1], v2, off offset:128
.LBB0_51:
	s_endpgm
	.section	.rodata,"a",@progbits
	.p2align	6, 0x0
	.amdhsa_kernel fft_rtc_back_len1232_factors_2_2_2_2_11_7_wgs_176_tpt_176_halfLds_half_ip_CI_unitstride_sbrr_dirReg
		.amdhsa_group_segment_fixed_size 0
		.amdhsa_private_segment_fixed_size 0
		.amdhsa_kernarg_size 88
		.amdhsa_user_sgpr_count 2
		.amdhsa_user_sgpr_dispatch_ptr 0
		.amdhsa_user_sgpr_queue_ptr 0
		.amdhsa_user_sgpr_kernarg_segment_ptr 1
		.amdhsa_user_sgpr_dispatch_id 0
		.amdhsa_user_sgpr_kernarg_preload_length 0
		.amdhsa_user_sgpr_kernarg_preload_offset 0
		.amdhsa_user_sgpr_private_segment_size 0
		.amdhsa_uses_dynamic_stack 0
		.amdhsa_enable_private_segment 0
		.amdhsa_system_sgpr_workgroup_id_x 1
		.amdhsa_system_sgpr_workgroup_id_y 0
		.amdhsa_system_sgpr_workgroup_id_z 0
		.amdhsa_system_sgpr_workgroup_info 0
		.amdhsa_system_vgpr_workitem_id 0
		.amdhsa_next_free_vgpr 61
		.amdhsa_next_free_sgpr 22
		.amdhsa_accum_offset 64
		.amdhsa_reserve_vcc 1
		.amdhsa_float_round_mode_32 0
		.amdhsa_float_round_mode_16_64 0
		.amdhsa_float_denorm_mode_32 3
		.amdhsa_float_denorm_mode_16_64 3
		.amdhsa_dx10_clamp 1
		.amdhsa_ieee_mode 1
		.amdhsa_fp16_overflow 0
		.amdhsa_tg_split 0
		.amdhsa_exception_fp_ieee_invalid_op 0
		.amdhsa_exception_fp_denorm_src 0
		.amdhsa_exception_fp_ieee_div_zero 0
		.amdhsa_exception_fp_ieee_overflow 0
		.amdhsa_exception_fp_ieee_underflow 0
		.amdhsa_exception_fp_ieee_inexact 0
		.amdhsa_exception_int_div_zero 0
	.end_amdhsa_kernel
	.text
.Lfunc_end0:
	.size	fft_rtc_back_len1232_factors_2_2_2_2_11_7_wgs_176_tpt_176_halfLds_half_ip_CI_unitstride_sbrr_dirReg, .Lfunc_end0-fft_rtc_back_len1232_factors_2_2_2_2_11_7_wgs_176_tpt_176_halfLds_half_ip_CI_unitstride_sbrr_dirReg
                                        ; -- End function
	.section	.AMDGPU.csdata,"",@progbits
; Kernel info:
; codeLenInByte = 7472
; NumSgprs: 28
; NumVgprs: 61
; NumAgprs: 0
; TotalNumVgprs: 61
; ScratchSize: 0
; MemoryBound: 0
; FloatMode: 240
; IeeeMode: 1
; LDSByteSize: 0 bytes/workgroup (compile time only)
; SGPRBlocks: 3
; VGPRBlocks: 7
; NumSGPRsForWavesPerEU: 28
; NumVGPRsForWavesPerEU: 61
; AccumOffset: 64
; Occupancy: 8
; WaveLimiterHint : 1
; COMPUTE_PGM_RSRC2:SCRATCH_EN: 0
; COMPUTE_PGM_RSRC2:USER_SGPR: 2
; COMPUTE_PGM_RSRC2:TRAP_HANDLER: 0
; COMPUTE_PGM_RSRC2:TGID_X_EN: 1
; COMPUTE_PGM_RSRC2:TGID_Y_EN: 0
; COMPUTE_PGM_RSRC2:TGID_Z_EN: 0
; COMPUTE_PGM_RSRC2:TIDIG_COMP_CNT: 0
; COMPUTE_PGM_RSRC3_GFX90A:ACCUM_OFFSET: 15
; COMPUTE_PGM_RSRC3_GFX90A:TG_SPLIT: 0
	.text
	.p2alignl 6, 3212836864
	.fill 256, 4, 3212836864
	.type	__hip_cuid_83c43721975c4fcb,@object ; @__hip_cuid_83c43721975c4fcb
	.section	.bss,"aw",@nobits
	.globl	__hip_cuid_83c43721975c4fcb
__hip_cuid_83c43721975c4fcb:
	.byte	0                               ; 0x0
	.size	__hip_cuid_83c43721975c4fcb, 1

	.ident	"AMD clang version 19.0.0git (https://github.com/RadeonOpenCompute/llvm-project roc-6.4.0 25133 c7fe45cf4b819c5991fe208aaa96edf142730f1d)"
	.section	".note.GNU-stack","",@progbits
	.addrsig
	.addrsig_sym __hip_cuid_83c43721975c4fcb
	.amdgpu_metadata
---
amdhsa.kernels:
  - .agpr_count:     0
    .args:
      - .actual_access:  read_only
        .address_space:  global
        .offset:         0
        .size:           8
        .value_kind:     global_buffer
      - .offset:         8
        .size:           8
        .value_kind:     by_value
      - .actual_access:  read_only
        .address_space:  global
        .offset:         16
        .size:           8
        .value_kind:     global_buffer
      - .actual_access:  read_only
        .address_space:  global
        .offset:         24
        .size:           8
        .value_kind:     global_buffer
      - .offset:         32
        .size:           8
        .value_kind:     by_value
      - .actual_access:  read_only
        .address_space:  global
        .offset:         40
        .size:           8
        .value_kind:     global_buffer
      - .actual_access:  read_only
        .address_space:  global
        .offset:         48
        .size:           8
        .value_kind:     global_buffer
      - .offset:         56
        .size:           4
        .value_kind:     by_value
      - .actual_access:  read_only
        .address_space:  global
        .offset:         64
        .size:           8
        .value_kind:     global_buffer
      - .actual_access:  read_only
        .address_space:  global
        .offset:         72
        .size:           8
        .value_kind:     global_buffer
      - .address_space:  global
        .offset:         80
        .size:           8
        .value_kind:     global_buffer
    .group_segment_fixed_size: 0
    .kernarg_segment_align: 8
    .kernarg_segment_size: 88
    .language:       OpenCL C
    .language_version:
      - 2
      - 0
    .max_flat_workgroup_size: 176
    .name:           fft_rtc_back_len1232_factors_2_2_2_2_11_7_wgs_176_tpt_176_halfLds_half_ip_CI_unitstride_sbrr_dirReg
    .private_segment_fixed_size: 0
    .sgpr_count:     28
    .sgpr_spill_count: 0
    .symbol:         fft_rtc_back_len1232_factors_2_2_2_2_11_7_wgs_176_tpt_176_halfLds_half_ip_CI_unitstride_sbrr_dirReg.kd
    .uniform_work_group_size: 1
    .uses_dynamic_stack: false
    .vgpr_count:     61
    .vgpr_spill_count: 0
    .wavefront_size: 64
amdhsa.target:   amdgcn-amd-amdhsa--gfx950
amdhsa.version:
  - 1
  - 2
...

	.end_amdgpu_metadata
